;; amdgpu-corpus repo=ROCm/rocFFT kind=compiled arch=gfx1030 opt=O3
	.text
	.amdgcn_target "amdgcn-amd-amdhsa--gfx1030"
	.amdhsa_code_object_version 6
	.protected	fft_rtc_fwd_len64_factors_8_8_wgs_256_tpt_8_half_ip_CI_sbcc_dirReg_intrinsicRead ; -- Begin function fft_rtc_fwd_len64_factors_8_8_wgs_256_tpt_8_half_ip_CI_sbcc_dirReg_intrinsicRead
	.globl	fft_rtc_fwd_len64_factors_8_8_wgs_256_tpt_8_half_ip_CI_sbcc_dirReg_intrinsicRead
	.p2align	8
	.type	fft_rtc_fwd_len64_factors_8_8_wgs_256_tpt_8_half_ip_CI_sbcc_dirReg_intrinsicRead,@function
fft_rtc_fwd_len64_factors_8_8_wgs_256_tpt_8_half_ip_CI_sbcc_dirReg_intrinsicRead: ; @fft_rtc_fwd_len64_factors_8_8_wgs_256_tpt_8_half_ip_CI_sbcc_dirReg_intrinsicRead
; %bb.0:
	s_load_dwordx4 s[0:3], s[4:5], 0x18
	s_mov_b32 s7, 0
	s_mov_b64 s[20:21], 0
	s_waitcnt lgkmcnt(0)
	s_load_dwordx2 s[16:17], s[0:1], 0x8
	s_waitcnt lgkmcnt(0)
	s_add_u32 s8, s16, -1
	s_addc_u32 s9, s17, -1
	s_lshr_b64 s[8:9], s[8:9], 5
	s_add_u32 s14, s8, 1
	s_addc_u32 s15, s9, 0
	v_cmp_lt_u64_e64 s8, s[6:7], s[14:15]
	s_and_b32 vcc_lo, exec_lo, s8
	s_cbranch_vccnz .LBB0_2
; %bb.1:
	v_cvt_f32_u32_e32 v1, s14
	s_sub_i32 s9, 0, s14
	s_mov_b32 s21, s7
	v_rcp_iflag_f32_e32 v1, v1
	v_mul_f32_e32 v1, 0x4f7ffffe, v1
	v_cvt_u32_f32_e32 v1, v1
	v_readfirstlane_b32 s8, v1
	s_mul_i32 s9, s9, s8
	s_mul_hi_u32 s9, s8, s9
	s_add_i32 s8, s8, s9
	s_mul_hi_u32 s8, s6, s8
	s_mul_i32 s9, s8, s14
	s_add_i32 s10, s8, 1
	s_sub_i32 s9, s6, s9
	s_sub_i32 s11, s9, s14
	s_cmp_ge_u32 s9, s14
	s_cselect_b32 s8, s10, s8
	s_cselect_b32 s9, s11, s9
	s_add_i32 s10, s8, 1
	s_cmp_ge_u32 s9, s14
	s_cselect_b32 s20, s10, s8
.LBB0_2:
	s_load_dwordx4 s[8:11], s[2:3], 0x0
	s_load_dwordx2 s[22:23], s[4:5], 0x10
	s_mul_i32 s12, s20, s15
	s_mul_hi_u32 s13, s20, s14
	s_mul_i32 s18, s20, s14
	s_add_i32 s13, s13, s12
	s_sub_u32 s18, s6, s18
	s_subb_u32 s19, 0, s13
	s_clause 0x1
	s_load_dwordx2 s[12:13], s[4:5], 0x58
	s_load_dwordx2 s[4:5], s[4:5], 0x0
	v_alignbit_b32 v1, s19, s18, 27
	s_lshl_b64 s[18:19], s[18:19], 5
	s_waitcnt lgkmcnt(0)
	v_mul_lo_u32 v1, s10, v1
	s_mul_hi_u32 s24, s10, s18
	v_cmp_lt_u64_e64 s25, s[22:23], 3
	s_mul_i32 s26, s11, s18
	s_and_b32 vcc_lo, exec_lo, s25
	v_add_nc_u32_e32 v1, s24, v1
	s_mul_i32 s24, s10, s18
	v_mov_b32_e32 v3, s24
	v_add_nc_u32_e32 v4, s26, v1
	s_cbranch_vccnz .LBB0_11
; %bb.3:
	s_add_u32 s24, s2, 16
	s_addc_u32 s25, s3, 0
	s_add_u32 s0, s0, 16
	s_addc_u32 s1, s1, 0
	s_mov_b64 s[26:27], 2
	s_mov_b32 s28, 0
	s_branch .LBB0_5
.LBB0_4:                                ;   in Loop: Header=BB0_5 Depth=1
	s_load_dwordx2 s[36:37], s[24:25], 0x0
	s_mul_i32 s15, s30, s15
	s_mul_hi_u32 s29, s30, s14
	s_mul_i32 s33, s31, s14
	s_mul_i32 s31, s34, s31
	s_mul_hi_u32 s38, s34, s30
	s_mul_i32 s39, s35, s30
	s_add_i32 s15, s29, s15
	s_add_i32 s29, s38, s31
	s_mul_i32 s40, s34, s30
	s_add_i32 s15, s15, s33
	s_add_i32 s29, s29, s39
	s_sub_u32 s20, s20, s40
	s_subb_u32 s21, s21, s29
	s_mul_i32 s14, s30, s14
	s_waitcnt lgkmcnt(0)
	s_mul_i32 s21, s36, s21
	s_mul_hi_u32 s29, s36, s20
	s_mul_i32 s31, s37, s20
	s_add_i32 s21, s29, s21
	s_mul_i32 s20, s36, s20
	s_add_i32 s21, s21, s31
	s_add_u32 s26, s26, 1
	s_addc_u32 s27, s27, 0
	v_add_co_u32 v3, vcc_lo, s20, v3
	v_cmp_ge_u64_e64 s29, s[26:27], s[22:23]
	v_add_co_ci_u32_e32 v4, vcc_lo, s21, v4, vcc_lo
	s_add_u32 s24, s24, 8
	s_addc_u32 s25, s25, 0
	s_add_u32 s0, s0, 8
	s_addc_u32 s1, s1, 0
	s_and_b32 vcc_lo, exec_lo, s29
	s_mov_b64 s[20:21], s[34:35]
	s_cbranch_vccnz .LBB0_9
.LBB0_5:                                ; =>This Inner Loop Header: Depth=1
	s_load_dwordx2 s[30:31], s[0:1], 0x0
	s_waitcnt lgkmcnt(0)
	s_or_b64 s[34:35], s[20:21], s[30:31]
	s_mov_b32 s29, s35
                                        ; implicit-def: $sgpr34_sgpr35
	s_cmp_lg_u64 s[28:29], 0
	s_mov_b32 s29, -1
	s_cbranch_scc0 .LBB0_7
; %bb.6:                                ;   in Loop: Header=BB0_5 Depth=1
	v_cvt_f32_u32_e32 v1, s30
	v_cvt_f32_u32_e32 v2, s31
	s_sub_u32 s34, 0, s30
	s_subb_u32 s35, 0, s31
	v_fmac_f32_e32 v1, 0x4f800000, v2
	v_rcp_f32_e32 v1, v1
	v_mul_f32_e32 v1, 0x5f7ffffc, v1
	v_mul_f32_e32 v2, 0x2f800000, v1
	v_trunc_f32_e32 v2, v2
	v_fmac_f32_e32 v1, 0xcf800000, v2
	v_cvt_u32_f32_e32 v2, v2
	v_cvt_u32_f32_e32 v1, v1
	v_readfirstlane_b32 s29, v2
	v_readfirstlane_b32 s33, v1
	s_mul_i32 s36, s34, s29
	s_mul_hi_u32 s38, s34, s33
	s_mul_i32 s37, s35, s33
	s_add_i32 s36, s38, s36
	s_mul_i32 s39, s34, s33
	s_add_i32 s36, s36, s37
	s_mul_hi_u32 s38, s33, s39
	s_mul_hi_u32 s40, s29, s39
	s_mul_i32 s37, s29, s39
	s_mul_hi_u32 s39, s33, s36
	s_mul_i32 s33, s33, s36
	s_mul_hi_u32 s41, s29, s36
	s_add_u32 s33, s38, s33
	s_addc_u32 s38, 0, s39
	s_add_u32 s33, s33, s37
	s_mul_i32 s36, s29, s36
	s_addc_u32 s33, s38, s40
	s_addc_u32 s37, s41, 0
	s_add_u32 s33, s33, s36
	s_addc_u32 s36, 0, s37
	v_add_co_u32 v1, s33, v1, s33
	s_cmp_lg_u32 s33, 0
	s_addc_u32 s29, s29, s36
	v_readfirstlane_b32 s33, v1
	s_mul_i32 s36, s34, s29
	s_mul_hi_u32 s37, s34, s33
	s_mul_i32 s35, s35, s33
	s_add_i32 s36, s37, s36
	s_mul_i32 s34, s34, s33
	s_add_i32 s36, s36, s35
	s_mul_hi_u32 s37, s29, s34
	s_mul_i32 s38, s29, s34
	s_mul_hi_u32 s34, s33, s34
	s_mul_hi_u32 s39, s33, s36
	s_mul_i32 s33, s33, s36
	s_mul_hi_u32 s35, s29, s36
	s_add_u32 s33, s34, s33
	s_addc_u32 s34, 0, s39
	s_add_u32 s33, s33, s38
	s_mul_i32 s36, s29, s36
	s_addc_u32 s33, s34, s37
	s_addc_u32 s34, s35, 0
	s_add_u32 s33, s33, s36
	s_addc_u32 s34, 0, s34
	v_add_co_u32 v1, s33, v1, s33
	s_cmp_lg_u32 s33, 0
	s_addc_u32 s29, s29, s34
	v_readfirstlane_b32 s33, v1
	s_mul_i32 s35, s20, s29
	s_mul_hi_u32 s34, s20, s29
	s_mul_hi_u32 s36, s21, s29
	s_mul_i32 s29, s21, s29
	s_mul_hi_u32 s37, s20, s33
	s_mul_hi_u32 s38, s21, s33
	s_mul_i32 s33, s21, s33
	s_add_u32 s35, s37, s35
	s_addc_u32 s34, 0, s34
	s_add_u32 s33, s35, s33
	s_addc_u32 s33, s34, s38
	s_addc_u32 s34, s36, 0
	s_add_u32 s33, s33, s29
	s_addc_u32 s34, 0, s34
	s_mul_hi_u32 s29, s30, s33
	s_mul_i32 s36, s30, s34
	s_mul_i32 s37, s30, s33
	s_add_i32 s29, s29, s36
	v_sub_co_u32 v1, s36, s20, s37
	s_mul_i32 s35, s31, s33
	s_add_i32 s29, s29, s35
	v_sub_co_u32 v2, s37, v1, s30
	s_sub_i32 s35, s21, s29
	s_cmp_lg_u32 s36, 0
	s_subb_u32 s35, s35, s31
	s_cmp_lg_u32 s37, 0
	v_readfirstlane_b32 s37, v2
	s_subb_u32 s35, s35, 0
	s_cmp_ge_u32 s35, s31
	s_cselect_b32 s38, -1, 0
	s_cmp_ge_u32 s37, s30
	s_cselect_b32 s37, -1, 0
	s_cmp_eq_u32 s35, s31
	s_cselect_b32 s35, s37, s38
	s_add_u32 s37, s33, 1
	s_addc_u32 s38, s34, 0
	s_add_u32 s39, s33, 2
	s_addc_u32 s40, s34, 0
	s_cmp_lg_u32 s35, 0
	s_cselect_b32 s37, s39, s37
	s_cselect_b32 s35, s40, s38
	s_cmp_lg_u32 s36, 0
	v_readfirstlane_b32 s36, v1
	s_subb_u32 s29, s21, s29
	s_cmp_ge_u32 s29, s31
	s_cselect_b32 s38, -1, 0
	s_cmp_ge_u32 s36, s30
	s_cselect_b32 s36, -1, 0
	s_cmp_eq_u32 s29, s31
	s_cselect_b32 s29, s36, s38
	s_cmp_lg_u32 s29, 0
	s_mov_b32 s29, 0
	s_cselect_b32 s35, s35, s34
	s_cselect_b32 s34, s37, s33
.LBB0_7:                                ;   in Loop: Header=BB0_5 Depth=1
	s_andn2_b32 vcc_lo, exec_lo, s29
	s_cbranch_vccnz .LBB0_4
; %bb.8:                                ;   in Loop: Header=BB0_5 Depth=1
	v_cvt_f32_u32_e32 v1, s30
	s_sub_i32 s33, 0, s30
	v_rcp_iflag_f32_e32 v1, v1
	v_mul_f32_e32 v1, 0x4f7ffffe, v1
	v_cvt_u32_f32_e32 v1, v1
	v_readfirstlane_b32 s29, v1
	s_mul_i32 s33, s33, s29
	s_mul_hi_u32 s33, s29, s33
	s_add_i32 s29, s29, s33
	s_mul_hi_u32 s29, s20, s29
	s_mul_i32 s33, s29, s30
	s_add_i32 s34, s29, 1
	s_sub_i32 s33, s20, s33
	s_sub_i32 s35, s33, s30
	s_cmp_ge_u32 s33, s30
	s_cselect_b32 s29, s34, s29
	s_cselect_b32 s33, s35, s33
	s_add_i32 s34, s29, 1
	s_cmp_ge_u32 s33, s30
	s_mov_b32 s35, s28
	s_cselect_b32 s34, s34, s29
	s_branch .LBB0_4
.LBB0_9:
	v_cmp_lt_u64_e64 s0, s[6:7], s[14:15]
	s_mov_b64 s[20:21], 0
	s_and_b32 vcc_lo, exec_lo, s0
	s_cbranch_vccnz .LBB0_11
; %bb.10:
	v_cvt_f32_u32_e32 v1, s14
	s_sub_i32 s1, 0, s14
	v_rcp_iflag_f32_e32 v1, v1
	v_mul_f32_e32 v1, 0x4f7ffffe, v1
	v_cvt_u32_f32_e32 v1, v1
	v_readfirstlane_b32 s0, v1
	s_mul_i32 s1, s1, s0
	s_mul_hi_u32 s1, s0, s1
	s_add_i32 s0, s0, s1
	s_mul_hi_u32 s0, s6, s0
	s_mul_i32 s1, s0, s14
	s_sub_i32 s1, s6, s1
	s_add_i32 s6, s0, 1
	s_sub_i32 s7, s1, s14
	s_cmp_ge_u32 s1, s14
	s_cselect_b32 s0, s6, s0
	s_cselect_b32 s1, s7, s1
	s_add_i32 s6, s0, 1
	s_cmp_ge_u32 s1, s14
	s_cselect_b32 s20, s6, s0
.LBB0_11:
	s_lshl_b64 s[0:1], s[22:23], 3
	v_and_b32_e32 v5, 31, v0
	s_add_u32 s0, s2, s0
	s_addc_u32 s1, s3, s1
	v_lshrrev_b32_e32 v6, 5, v0
	s_load_dwordx2 s[0:1], s[0:1], 0x0
	v_mov_b32_e32 v8, s19
	v_or_b32_e32 v7, s18, v5
	v_mad_u64_u32 v[1:2], null, s10, v5, 0
	v_or_b32_e32 v11, 16, v6
	v_or_b32_e32 v10, 8, v6
	;; [unrolled: 1-line block ×5, first 2 shown]
	v_cmp_gt_u64_e32 vcc_lo, s[16:17], v[7:8]
	v_mul_lo_u32 v8, s8, v11
	v_or_b32_e32 v11, 48, v6
	v_or_b32_e32 v15, 56, v6
	v_mul_lo_u32 v9, s8, v6
	v_mul_lo_u32 v7, s8, v10
	v_mul_lo_u32 v12, s8, v12
	v_mul_lo_u32 v13, s8, v13
	v_mul_lo_u32 v14, s8, v14
	v_mul_lo_u32 v11, s8, v11
	s_waitcnt lgkmcnt(0)
	s_mul_i32 s1, s1, s20
	s_mul_hi_u32 s2, s0, s20
	s_mul_i32 s0, s0, s20
	s_add_i32 s1, s2, s1
	v_add_co_u32 v3, s0, s0, v3
	s_add_u32 s2, s18, 32
	s_addc_u32 s3, s19, 0
	v_mul_lo_u32 v15, s8, v15
	v_cmp_le_u64_e64 s2, s[2:3], s[16:17]
	v_lshlrev_b32_e32 v10, 2, v3
	v_add_lshl_u32 v9, v1, v9, 2
	v_add_lshl_u32 v7, v1, v7, 2
	;; [unrolled: 1-line block ×3, first 2 shown]
	v_add_co_ci_u32_e64 v4, s0, s1, v4, s0
	s_or_b32 vcc_lo, s2, vcc_lo
	v_readfirstlane_b32 s0, v10
	v_add_lshl_u32 v10, v1, v12, 2
	v_add_lshl_u32 v12, v1, v13, 2
	;; [unrolled: 1-line block ×5, first 2 shown]
	v_cndmask_b32_e32 v9, -1, v9, vcc_lo
	v_cndmask_b32_e32 v7, -1, v7, vcc_lo
	;; [unrolled: 1-line block ×3, first 2 shown]
	s_mov_b32 s15, 0x31014000
	s_mov_b32 s14, -2
	v_cndmask_b32_e32 v10, -1, v10, vcc_lo
	v_cndmask_b32_e32 v12, -1, v12, vcc_lo
	;; [unrolled: 1-line block ×5, first 2 shown]
	s_clause 0x7
	buffer_load_dword v9, v9, s[12:15], s0 offen
	buffer_load_dword v7, v7, s[12:15], s0 offen
	;; [unrolled: 1-line block ×8, first 2 shown]
	s_waitcnt vmcnt(3)
	v_pk_add_f16 v12, v9, v12 neg_lo:[0,1] neg_hi:[0,1]
	s_waitcnt vmcnt(2)
	v_pk_add_f16 v11, v8, v11 op_sel:[1,1] op_sel_hi:[0,0] neg_lo:[0,1] neg_hi:[0,1]
	s_waitcnt vmcnt(1)
	v_pk_add_f16 v13, v7, v13 neg_lo:[0,1] neg_hi:[0,1]
	s_waitcnt vmcnt(0)
	v_pk_add_f16 v14, v10, v14 op_sel:[1,1] op_sel_hi:[0,0] neg_lo:[0,1] neg_hi:[0,1]
	v_pk_fma_f16 v9, v9, 2.0, v12 op_sel_hi:[1,0,1] neg_lo:[0,0,1] neg_hi:[0,0,1]
	v_pk_add_f16 v15, v12, v11 neg_lo:[0,1] neg_hi:[0,1]
	v_pk_add_f16 v16, v12, v11
	v_pk_fma_f16 v8, v8, 2.0, v11 op_sel:[1,0,0] op_sel_hi:[0,0,1] neg_lo:[0,0,1] neg_hi:[0,0,1]
	v_pk_fma_f16 v11, v7, 2.0, v13 op_sel_hi:[1,0,1] neg_lo:[0,0,1] neg_hi:[0,0,1]
	v_pk_fma_f16 v7, v10, 2.0, v14 op_sel:[1,0,0] op_sel_hi:[0,0,1] neg_lo:[0,0,1] neg_hi:[0,0,1]
	v_pk_add_f16 v17, v13, v14 neg_lo:[0,1] neg_hi:[0,1]
	v_pk_add_f16 v10, v13, v14
	v_bfi_b32 v14, 0xffff, v15, v16
	v_pk_add_f16 v8, v9, v8 op_sel:[0,1] op_sel_hi:[1,0] neg_lo:[0,1] neg_hi:[0,1]
	v_pk_add_f16 v15, v11, v7 op_sel:[1,0] op_sel_hi:[0,1] neg_lo:[0,1] neg_hi:[0,1]
	v_lshl_add_u32 v7, v6, 10, 0
	v_bfi_b32 v10, 0xffff, v17, v10
	v_pk_fma_f16 v12, v12, 2.0, v14 op_sel_hi:[1,0,1] neg_lo:[0,0,1] neg_hi:[0,0,1]
	v_pk_fma_f16 v9, v9, 2.0, v8 op_sel_hi:[1,0,1] neg_lo:[0,0,1] neg_hi:[0,0,1]
	v_pk_fma_f16 v11, v11, 2.0, v15 op_sel:[1,0,0] op_sel_hi:[0,0,1] neg_lo:[0,0,1] neg_hi:[0,0,1]
	v_pk_add_f16 v16, v8, v15 neg_lo:[0,1] neg_hi:[0,1]
	v_pk_fma_f16 v13, v13, 2.0, v10 op_sel_hi:[1,0,1] neg_lo:[0,0,1] neg_hi:[0,0,1]
	v_pk_mul_f16 v17, 0x39a8, v10 op_sel_hi:[0,1]
	v_pk_fma_f16 v10, 0x39a8, v10, v14 op_sel_hi:[0,1,1]
	v_pk_add_f16 v11, v9, v11 op_sel:[0,1] op_sel_hi:[1,0] neg_lo:[0,1] neg_hi:[0,1]
	v_lshrrev_b32_e32 v19, 16, v9
	v_pk_mul_f16 v18, 0x39a8, v13 op_sel_hi:[0,1]
	v_pk_fma_f16 v13, 0x39a8, v13, v12 op_sel_hi:[0,1,1] neg_lo:[0,1,0] neg_hi:[0,1,0]
	v_pk_add_f16 v15, v8, v15
	v_lshrrev_b32_e32 v20, 16, v11
	v_pk_add_f16 v21, v10, v17 op_sel:[0,1] op_sel_hi:[1,0] neg_lo:[0,1] neg_hi:[0,1]
	v_pk_add_f16 v10, v10, v17 op_sel:[0,1] op_sel_hi:[1,0]
	v_pk_add_f16 v17, v13, v18 op_sel:[0,1] op_sel_hi:[1,0] neg_lo:[0,1] neg_hi:[0,1]
	v_pk_add_f16 v13, v13, v18 op_sel:[0,1] op_sel_hi:[1,0]
	v_fma_f16 v18, v19, 2.0, -v20
	v_bfi_b32 v15, 0xffff, v16, v15
	v_bfi_b32 v10, 0xffff, v21, v10
	v_fma_f16 v9, v9, 2.0, -v11
	v_bfi_b32 v13, 0xffff, v17, v13
	v_lshlrev_b32_e32 v16, 16, v18
	v_lshl_add_u32 v17, v5, 2, v7
	v_pk_fma_f16 v8, v8, 2.0, v15 op_sel_hi:[1,0,1] neg_lo:[0,0,1] neg_hi:[0,0,1]
	v_pk_fma_f16 v14, v14, 2.0, v10 op_sel_hi:[1,0,1] neg_lo:[0,0,1] neg_hi:[0,0,1]
	;; [unrolled: 1-line block ×3, first 2 shown]
	v_or_b32_sdwa v9, v16, v9 dst_sel:DWORD dst_unused:UNUSED_PAD src0_sel:DWORD src1_sel:WORD_0
	ds_write2_b32 v17, v15, v10 offset0:192 offset1:224
	ds_write2_b32 v17, v8, v14 offset0:64 offset1:96
	;; [unrolled: 1-line block ×3, first 2 shown]
	ds_write2_b32 v17, v9, v12 offset1:32
	s_waitcnt lgkmcnt(0)
	s_barrier
	buffer_gl0_inv
	s_and_saveexec_b32 s0, vcc_lo
	s_cbranch_execz .LBB0_13
; %bb.12:
	v_bfe_u32 v15, v0, 5, 3
	v_lshlrev_b64 v[3:4], 2, v[3:4]
	v_lshrrev_b32_e32 v0, 2, v0
	v_mul_i32_i24_e32 v16, 0xfffffc80, v6
	v_lshlrev_b32_e32 v17, 2, v5
	v_mul_u32_u24_e32 v8, 7, v15
	v_mad_u64_u32 v[5:6], null, s11, v5, v[2:3]
	v_and_or_b32 v35, 0xc0, v0, v15
	v_lshlrev_b32_e32 v12, 2, v8
	v_add3_u32 v2, v7, v16, v17
	v_add_co_u32 v37, vcc_lo, s12, v3
	v_mad_u64_u32 v[19:20], null, s8, v35, 0
	s_clause 0x1
	global_load_dwordx4 v[8:11], v12, s[4:5]
	global_load_dwordx3 v[12:14], v12, s[4:5] offset:16
	v_or_b32_e32 v39, 8, v35
	v_add_co_ci_u32_e32 v38, vcc_lo, s13, v4, vcc_lo
	ds_read2st64_b32 v[3:4], v2 offset1:4
	ds_read2st64_b32 v[6:7], v2 offset0:16 offset1:20
	ds_read2st64_b32 v[15:16], v2 offset0:8 offset1:12
	;; [unrolled: 1-line block ×3, first 2 shown]
	v_mov_b32_e32 v2, v5
	v_or_b32_e32 v40, 16, v35
	v_or_b32_e32 v41, 24, v35
	v_mad_u64_u32 v[21:22], null, s8, v39, 0
	v_lshlrev_b64 v[1:2], 2, v[1:2]
	v_or_b32_e32 v42, 32, v35
	v_mad_u64_u32 v[23:24], null, s8, v40, 0
	v_mov_b32_e32 v0, v20
	v_or_b32_e32 v43, 40, v35
	v_or_b32_e32 v44, 48, v35
	v_mad_u64_u32 v[25:26], null, s8, v41, 0
	v_or_b32_e32 v45, 56, v35
	v_mad_u64_u32 v[27:28], null, s8, v42, 0
	v_mad_u64_u32 v[35:36], null, s9, v35, v[0:1]
	v_mov_b32_e32 v0, v22
	v_mad_u64_u32 v[29:30], null, s8, v43, 0
	v_mad_u64_u32 v[31:32], null, s8, v44, 0
	;; [unrolled: 1-line block ×3, first 2 shown]
	v_mov_b32_e32 v5, v24
	v_mov_b32_e32 v20, v26
	v_add_co_u32 v46, vcc_lo, v37, v1
	v_mad_u64_u32 v[0:1], null, s9, v39, v[0:1]
	v_mov_b32_e32 v22, v28
	v_add_co_ci_u32_e32 v47, vcc_lo, v38, v2, vcc_lo
	s_waitcnt lgkmcnt(2)
	v_mad_u64_u32 v[1:2], null, s9, v40, v[5:6]
	v_mov_b32_e32 v24, v30
	v_mov_b32_e32 v26, v32
	v_mad_u64_u32 v[36:37], null, s9, v41, v[20:21]
	v_mov_b32_e32 v20, v35
	v_mov_b32_e32 v28, v34
	v_mad_u64_u32 v[37:38], null, s9, v42, v[22:23]
	v_mov_b32_e32 v22, v0
	v_mad_u64_u32 v[38:39], null, s9, v43, v[24:25]
	v_mad_u64_u32 v[39:40], null, s9, v44, v[26:27]
	v_lshlrev_b64 v[19:20], 2, v[19:20]
	v_mad_u64_u32 v[40:41], null, s9, v45, v[28:29]
	v_mov_b32_e32 v24, v1
	v_lshlrev_b64 v[0:1], 2, v[21:22]
	v_mov_b32_e32 v26, v36
	v_add_co_u32 v19, vcc_lo, v46, v19
	v_lshlrev_b64 v[21:22], 2, v[23:24]
	v_mov_b32_e32 v28, v37
	v_add_co_ci_u32_e32 v20, vcc_lo, v47, v20, vcc_lo
	v_lshrrev_b32_e32 v5, 16, v6
	s_waitcnt lgkmcnt(1)
	v_lshrrev_b32_e32 v41, 16, v15
	s_waitcnt lgkmcnt(0)
	v_lshrrev_b32_e32 v42, 16, v17
	v_lshrrev_b32_e32 v35, 16, v4
	;; [unrolled: 1-line block ×5, first 2 shown]
	v_mov_b32_e32 v30, v38
	v_mov_b32_e32 v32, v39
	;; [unrolled: 1-line block ×3, first 2 shown]
	v_lshlrev_b64 v[23:24], 2, v[25:26]
	v_add_co_u32 v0, vcc_lo, v46, v0
	v_add_co_ci_u32_e32 v1, vcc_lo, v47, v1, vcc_lo
	v_lshlrev_b64 v[25:26], 2, v[27:28]
	v_add_co_u32 v21, vcc_lo, v46, v21
	v_lshlrev_b64 v[27:28], 2, v[29:30]
	v_lshlrev_b64 v[29:30], 2, v[31:32]
	;; [unrolled: 1-line block ×3, first 2 shown]
	v_add_co_ci_u32_e32 v22, vcc_lo, v47, v22, vcc_lo
	v_add_co_u32 v23, vcc_lo, v46, v23
	v_add_co_ci_u32_e32 v24, vcc_lo, v47, v24, vcc_lo
	v_add_co_u32 v25, vcc_lo, v46, v25
	v_lshrrev_b32_e32 v2, 16, v3
	v_add_co_ci_u32_e32 v26, vcc_lo, v47, v26, vcc_lo
	v_add_co_u32 v27, vcc_lo, v46, v27
	v_add_co_ci_u32_e32 v28, vcc_lo, v47, v28, vcc_lo
	v_add_co_u32 v29, vcc_lo, v46, v29
	v_add_co_ci_u32_e32 v30, vcc_lo, v47, v30, vcc_lo
	s_waitcnt vmcnt(1)
	v_mul_f16_sdwa v33, v11, v6 dst_sel:DWORD dst_unused:UNUSED_PAD src0_sel:WORD_1 src1_sel:DWORD
	v_mul_f16_sdwa v34, v9, v41 dst_sel:DWORD dst_unused:UNUSED_PAD src0_sel:WORD_1 src1_sel:DWORD
	s_waitcnt vmcnt(0)
	v_mul_f16_sdwa v36, v42, v13 dst_sel:DWORD dst_unused:UNUSED_PAD src0_sel:DWORD src1_sel:WORD_1
	v_mul_f16_sdwa v37, v8, v35 dst_sel:DWORD dst_unused:UNUSED_PAD src0_sel:WORD_1 src1_sel:DWORD
	v_mul_f16_sdwa v38, v12, v43 dst_sel:DWORD dst_unused:UNUSED_PAD src0_sel:WORD_1 src1_sel:DWORD
	v_mul_f16_sdwa v39, v10, v16 dst_sel:DWORD dst_unused:UNUSED_PAD src0_sel:WORD_1 src1_sel:DWORD
	v_mul_f16_sdwa v40, v18, v14 dst_sel:DWORD dst_unused:UNUSED_PAD src0_sel:DWORD src1_sel:WORD_1
	v_mul_f16_sdwa v48, v8, v4 dst_sel:DWORD dst_unused:UNUSED_PAD src0_sel:WORD_1 src1_sel:DWORD
	v_mul_f16_sdwa v49, v12, v7 dst_sel:DWORD dst_unused:UNUSED_PAD src0_sel:WORD_1 src1_sel:DWORD
	v_mul_f16_sdwa v50, v10, v44 dst_sel:DWORD dst_unused:UNUSED_PAD src0_sel:WORD_1 src1_sel:DWORD
	;; [unrolled: 4-line block ×3, first 2 shown]
	v_fmac_f16_e32 v33, v11, v5
	v_fma_f16 v15, v9, v15, -v34
	v_fma_f16 v5, v13, v17, -v36
	;; [unrolled: 1-line block ×4, first 2 shown]
	v_fmac_f16_e32 v39, v10, v44
	v_fmac_f16_e32 v40, v45, v14
	;; [unrolled: 1-line block ×4, first 2 shown]
	v_fma_f16 v7, v10, v16, -v50
	v_fma_f16 v8, v18, v14, -v51
	;; [unrolled: 1-line block ×3, first 2 shown]
	v_fmac_f16_e32 v53, v9, v41
	v_fmac_f16_e32 v54, v42, v13
	v_sub_f16_e32 v9, v2, v33
	v_sub_f16_e32 v10, v15, v5
	;; [unrolled: 1-line block ×8, first 2 shown]
	v_add_co_u32 v4, vcc_lo, v46, v31
	v_add_co_ci_u32_e32 v5, vcc_lo, v47, v32, vcc_lo
	v_add_f16_e32 v16, v9, v10
	v_sub_f16_e32 v18, v11, v12
	v_add_f16_e32 v31, v13, v8
	v_sub_f16_e32 v32, v6, v14
	v_fma_f16 v2, v2, 2.0, -v9
	v_fma_f16 v14, v53, 2.0, -v14
	;; [unrolled: 1-line block ×8, first 2 shown]
	v_fmamk_f16 v15, v31, 0x39a8, v16
	v_sub_f16_e32 v14, v2, v14
	v_sub_f16_e32 v7, v17, v7
	;; [unrolled: 1-line block ×4, first 2 shown]
	v_fma_f16 v9, v9, 2.0, -v16
	v_fma_f16 v11, v11, 2.0, -v18
	;; [unrolled: 1-line block ×4, first 2 shown]
	v_fmamk_f16 v33, v18, 0x39a8, v32
	v_fmac_f16_e32 v15, 0x39a8, v18
	v_add_f16_e32 v18, v14, v7
	v_fma_f16 v2, v2, 2.0, -v14
	v_fma_f16 v10, v10, 2.0, -v12
	;; [unrolled: 1-line block ×4, first 2 shown]
	v_fmamk_f16 v34, v13, 0xb9a8, v9
	v_fmamk_f16 v35, v11, 0xb9a8, v6
	v_sub_f16_e32 v10, v2, v10
	v_fmac_f16_e32 v33, 0xb9a8, v31
	v_sub_f16_e32 v7, v3, v7
	v_fmac_f16_e32 v34, 0x39a8, v11
	v_fmac_f16_e32 v35, 0xb9a8, v13
	v_sub_f16_e32 v31, v8, v12
	v_fma_f16 v2, v2, 2.0, -v10
	v_fma_f16 v3, v3, 2.0, -v7
	;; [unrolled: 1-line block ×8, first 2 shown]
	v_pack_b32_f16 v2, v3, v2
	v_pack_b32_f16 v3, v6, v9
	;; [unrolled: 1-line block ×8, first 2 shown]
	global_store_dword v[19:20], v2, off
	global_store_dword v[0:1], v3, off
	;; [unrolled: 1-line block ×8, first 2 shown]
.LBB0_13:
	s_endpgm
	.section	.rodata,"a",@progbits
	.p2align	6, 0x0
	.amdhsa_kernel fft_rtc_fwd_len64_factors_8_8_wgs_256_tpt_8_half_ip_CI_sbcc_dirReg_intrinsicRead
		.amdhsa_group_segment_fixed_size 0
		.amdhsa_private_segment_fixed_size 0
		.amdhsa_kernarg_size 96
		.amdhsa_user_sgpr_count 6
		.amdhsa_user_sgpr_private_segment_buffer 1
		.amdhsa_user_sgpr_dispatch_ptr 0
		.amdhsa_user_sgpr_queue_ptr 0
		.amdhsa_user_sgpr_kernarg_segment_ptr 1
		.amdhsa_user_sgpr_dispatch_id 0
		.amdhsa_user_sgpr_flat_scratch_init 0
		.amdhsa_user_sgpr_private_segment_size 0
		.amdhsa_wavefront_size32 1
		.amdhsa_uses_dynamic_stack 0
		.amdhsa_system_sgpr_private_segment_wavefront_offset 0
		.amdhsa_system_sgpr_workgroup_id_x 1
		.amdhsa_system_sgpr_workgroup_id_y 0
		.amdhsa_system_sgpr_workgroup_id_z 0
		.amdhsa_system_sgpr_workgroup_info 0
		.amdhsa_system_vgpr_workitem_id 0
		.amdhsa_next_free_vgpr 55
		.amdhsa_next_free_sgpr 42
		.amdhsa_reserve_vcc 1
		.amdhsa_reserve_flat_scratch 0
		.amdhsa_float_round_mode_32 0
		.amdhsa_float_round_mode_16_64 0
		.amdhsa_float_denorm_mode_32 3
		.amdhsa_float_denorm_mode_16_64 3
		.amdhsa_dx10_clamp 1
		.amdhsa_ieee_mode 1
		.amdhsa_fp16_overflow 0
		.amdhsa_workgroup_processor_mode 1
		.amdhsa_memory_ordered 1
		.amdhsa_forward_progress 0
		.amdhsa_shared_vgpr_count 0
		.amdhsa_exception_fp_ieee_invalid_op 0
		.amdhsa_exception_fp_denorm_src 0
		.amdhsa_exception_fp_ieee_div_zero 0
		.amdhsa_exception_fp_ieee_overflow 0
		.amdhsa_exception_fp_ieee_underflow 0
		.amdhsa_exception_fp_ieee_inexact 0
		.amdhsa_exception_int_div_zero 0
	.end_amdhsa_kernel
	.text
.Lfunc_end0:
	.size	fft_rtc_fwd_len64_factors_8_8_wgs_256_tpt_8_half_ip_CI_sbcc_dirReg_intrinsicRead, .Lfunc_end0-fft_rtc_fwd_len64_factors_8_8_wgs_256_tpt_8_half_ip_CI_sbcc_dirReg_intrinsicRead
                                        ; -- End function
	.section	.AMDGPU.csdata,"",@progbits
; Kernel info:
; codeLenInByte = 3276
; NumSgprs: 44
; NumVgprs: 55
; ScratchSize: 0
; MemoryBound: 0
; FloatMode: 240
; IeeeMode: 1
; LDSByteSize: 0 bytes/workgroup (compile time only)
; SGPRBlocks: 5
; VGPRBlocks: 6
; NumSGPRsForWavesPerEU: 44
; NumVGPRsForWavesPerEU: 55
; Occupancy: 16
; WaveLimiterHint : 1
; COMPUTE_PGM_RSRC2:SCRATCH_EN: 0
; COMPUTE_PGM_RSRC2:USER_SGPR: 6
; COMPUTE_PGM_RSRC2:TRAP_HANDLER: 0
; COMPUTE_PGM_RSRC2:TGID_X_EN: 1
; COMPUTE_PGM_RSRC2:TGID_Y_EN: 0
; COMPUTE_PGM_RSRC2:TGID_Z_EN: 0
; COMPUTE_PGM_RSRC2:TIDIG_COMP_CNT: 0
	.text
	.p2alignl 6, 3214868480
	.fill 48, 4, 3214868480
	.type	__hip_cuid_7446b5a14b00d43a,@object ; @__hip_cuid_7446b5a14b00d43a
	.section	.bss,"aw",@nobits
	.globl	__hip_cuid_7446b5a14b00d43a
__hip_cuid_7446b5a14b00d43a:
	.byte	0                               ; 0x0
	.size	__hip_cuid_7446b5a14b00d43a, 1

	.ident	"AMD clang version 19.0.0git (https://github.com/RadeonOpenCompute/llvm-project roc-6.4.0 25133 c7fe45cf4b819c5991fe208aaa96edf142730f1d)"
	.section	".note.GNU-stack","",@progbits
	.addrsig
	.addrsig_sym __hip_cuid_7446b5a14b00d43a
	.amdgpu_metadata
---
amdhsa.kernels:
  - .args:
      - .actual_access:  read_only
        .address_space:  global
        .offset:         0
        .size:           8
        .value_kind:     global_buffer
      - .address_space:  global
        .offset:         8
        .size:           8
        .value_kind:     global_buffer
      - .offset:         16
        .size:           8
        .value_kind:     by_value
      - .actual_access:  read_only
        .address_space:  global
        .offset:         24
        .size:           8
        .value_kind:     global_buffer
      - .actual_access:  read_only
        .address_space:  global
        .offset:         32
        .size:           8
        .value_kind:     global_buffer
      - .offset:         40
        .size:           8
        .value_kind:     by_value
      - .actual_access:  read_only
        .address_space:  global
        .offset:         48
        .size:           8
        .value_kind:     global_buffer
      - .actual_access:  read_only
        .address_space:  global
        .offset:         56
        .size:           8
        .value_kind:     global_buffer
      - .offset:         64
        .size:           4
        .value_kind:     by_value
      - .actual_access:  read_only
        .address_space:  global
        .offset:         72
        .size:           8
        .value_kind:     global_buffer
      - .actual_access:  read_only
        .address_space:  global
        .offset:         80
        .size:           8
        .value_kind:     global_buffer
      - .address_space:  global
        .offset:         88
        .size:           8
        .value_kind:     global_buffer
    .group_segment_fixed_size: 0
    .kernarg_segment_align: 8
    .kernarg_segment_size: 96
    .language:       OpenCL C
    .language_version:
      - 2
      - 0
    .max_flat_workgroup_size: 256
    .name:           fft_rtc_fwd_len64_factors_8_8_wgs_256_tpt_8_half_ip_CI_sbcc_dirReg_intrinsicRead
    .private_segment_fixed_size: 0
    .sgpr_count:     44
    .sgpr_spill_count: 0
    .symbol:         fft_rtc_fwd_len64_factors_8_8_wgs_256_tpt_8_half_ip_CI_sbcc_dirReg_intrinsicRead.kd
    .uniform_work_group_size: 1
    .uses_dynamic_stack: false
    .vgpr_count:     55
    .vgpr_spill_count: 0
    .wavefront_size: 32
    .workgroup_processor_mode: 1
amdhsa.target:   amdgcn-amd-amdhsa--gfx1030
amdhsa.version:
  - 1
  - 2
...

	.end_amdgpu_metadata
